;; amdgpu-corpus repo=ROCm/rocFFT kind=compiled arch=gfx950 opt=O3
	.text
	.amdgcn_target "amdgcn-amd-amdhsa--gfx950"
	.amdhsa_code_object_version 6
	.protected	fft_rtc_back_len243_factors_3_3_3_3_3_wgs_216_tpt_27_sp_op_CI_CI_sbrc_erc_z_xy_aligned_dirReg ; -- Begin function fft_rtc_back_len243_factors_3_3_3_3_3_wgs_216_tpt_27_sp_op_CI_CI_sbrc_erc_z_xy_aligned_dirReg
	.globl	fft_rtc_back_len243_factors_3_3_3_3_3_wgs_216_tpt_27_sp_op_CI_CI_sbrc_erc_z_xy_aligned_dirReg
	.p2align	8
	.type	fft_rtc_back_len243_factors_3_3_3_3_3_wgs_216_tpt_27_sp_op_CI_CI_sbrc_erc_z_xy_aligned_dirReg,@function
fft_rtc_back_len243_factors_3_3_3_3_3_wgs_216_tpt_27_sp_op_CI_CI_sbrc_erc_z_xy_aligned_dirReg: ; @fft_rtc_back_len243_factors_3_3_3_3_3_wgs_216_tpt_27_sp_op_CI_CI_sbrc_erc_z_xy_aligned_dirReg
; %bb.0:
	s_load_dwordx8 s[4:11], s[0:1], 0x0
	v_mov_b32_e32 v43, 3
	v_cmp_gt_u32_e32 vcc, 8, v0
	s_waitcnt lgkmcnt(0)
	s_load_dwordx4 s[12:15], s[8:9], 0x8
	s_nop 0
	s_load_dwordx2 s[8:9], s[0:1], 0x20
	s_load_dwordx4 s[16:19], s[10:11], 0x0
	s_load_dword s24, s[10:11], 0x10
	s_waitcnt lgkmcnt(0)
	s_add_i32 s3, s12, -1
	s_lshr_b32 s3, s3, 3
	s_add_i32 s22, s3, 1
	s_mul_i32 s23, s22, s14
	v_cvt_f32_u32_e32 v2, s23
	v_cvt_f32_u32_e32 v1, s22
	s_load_dwordx4 s[12:15], s[8:9], 0x0
	s_load_dwordx2 s[20:21], s[8:9], 0x10
	s_waitcnt lgkmcnt(0)
	s_sub_i32 s15, 0, s23
	v_rcp_iflag_f32_e32 v2, v2
	v_rcp_iflag_f32_e32 v1, v1
	v_mul_f32_e32 v2, 0x4f7ffffe, v2
	v_cvt_u32_f32_e32 v2, v2
	v_mul_f32_e32 v1, 0x4f7ffffe, v1
	v_cvt_u32_f32_e32 v1, v1
	v_readfirstlane_b32 s19, v2
	s_mul_i32 s15, s15, s19
	s_mul_hi_u32 s15, s19, s15
	s_add_i32 s19, s19, s15
	s_mul_hi_u32 s15, s2, s19
	s_mul_i32 s19, s15, s23
	s_sub_i32 s19, s2, s19
	s_add_i32 s25, s15, 1
	s_sub_i32 s26, s19, s23
	s_cmp_ge_u32 s19, s23
	s_cselect_b32 s15, s25, s15
	s_cselect_b32 s19, s26, s19
	s_add_i32 s25, s15, 1
	s_cmp_ge_u32 s19, s23
	v_readfirstlane_b32 s21, v1
	s_cselect_b32 s19, s25, s15
	s_not_b32 s3, s3
	s_mul_i32 s3, s3, s21
	s_mul_i32 s15, s19, s23
	s_mul_hi_u32 s3, s21, s3
	s_sub_i32 s15, s2, s15
	s_add_i32 s3, s21, s3
	s_mul_hi_u32 s21, s15, s3
	s_mul_i32 s23, s21, s22
	s_sub_i32 s15, s15, s23
	s_add_i32 s23, s21, 1
	s_sub_i32 s25, s15, s22
	s_cmp_ge_u32 s15, s22
	s_cselect_b32 s21, s23, s21
	s_cselect_b32 s15, s25, s15
	s_add_i32 s23, s21, 1
	s_mul_hi_u32 s3, s2, s3
	s_cmp_ge_u32 s15, s22
	s_mul_i32 s3, s3, s22
	s_cselect_b32 s21, s23, s21
	s_sub_i32 s2, s2, s3
	s_sub_i32 s3, s2, s22
	s_cmp_ge_u32 s2, s22
	s_cselect_b32 s2, s3, s2
	s_sub_i32 s3, s2, s22
	s_cmp_ge_u32 s2, s22
	s_cselect_b32 s2, s3, s2
	s_lshl_b32 s22, s2, 3
	s_mul_i32 s3, s21, s24
	s_mul_i32 s2, s22, s18
	s_add_i32 s2, s2, s3
	s_mul_i32 s3, s13, s22
	s_mul_hi_u32 s15, s12, s22
	s_add_i32 s15, s15, s3
	s_lshl_b64 s[6:7], s[6:7], 3
	s_add_u32 s10, s10, s6
	s_addc_u32 s11, s11, s7
	s_load_dwordx2 s[24:25], s[10:11], 0x0
	v_mul_u32_u24_e32 v1, 0x10e, v0
	v_lshrrev_b32_e32 v1, 16, v1
	v_mul_lo_u16_e32 v2, 0xf3, v1
	v_sub_u16_e32 v28, v0, v2
	s_waitcnt lgkmcnt(0)
	s_mul_i32 s3, s25, s19
	s_mul_hi_u32 s10, s24, s19
	s_add_i32 s25, s10, s3
	s_add_u32 s26, s8, s6
	s_addc_u32 s27, s9, s7
	s_load_dwordx2 s[6:7], s[26:27], 0x0
	s_load_dwordx4 s[8:11], s[0:1], 0x58
	s_mul_i32 s24, s24, s19
	s_lshl_b64 s[24:25], s[24:25], 3
	s_mov_b32 s3, 0
	s_waitcnt lgkmcnt(0)
	s_mul_i32 s0, s7, s19
	s_mul_hi_u32 s1, s6, s19
	s_add_i32 s1, s1, s0
	v_mad_u64_u32 v[4:5], s[26:27], s16, v28, 0
	s_add_u32 s0, s8, s24
	v_mov_b32_e32 v2, v5
	s_addc_u32 s7, s9, s25
	s_lshl_b64 s[8:9], s[2:3], 3
	v_mad_u64_u32 v[2:3], s[26:27], s17, v28, v[2:3]
	s_add_u32 s8, s0, s8
	v_mov_b32_e32 v5, v2
	s_addc_u32 s9, s7, s9
	v_mul_lo_u32 v2, s18, v1
	v_mov_b32_e32 v3, 0
	v_lshl_add_u64 v[4:5], v[4:5], 3, s[8:9]
	v_lshl_add_u64 v[4:5], v[2:3], 3, v[4:5]
	v_add_u16_e32 v2, 0xd8, v0
	v_mul_u32_u24_e32 v6, 0x10e, v2
	v_lshrrev_b32_e32 v29, 16, v6
	v_mul_lo_u16_e32 v6, 0xf3, v29
	v_sub_u16_e32 v30, v2, v6
	v_mad_u64_u32 v[6:7], s[24:25], s16, v30, 0
	v_mov_b32_e32 v2, v7
	v_mad_u64_u32 v[8:9], s[24:25], s17, v30, v[2:3]
	v_mov_b32_e32 v7, v8
	s_mov_b32 s0, 0x28801b0
	v_mul_lo_u32 v2, s18, v29
	v_lshl_add_u64 v[6:7], v[6:7], 3, s[8:9]
	v_pk_add_u16 v12, v0, s0 op_sel_hi:[0,1]
	v_lshl_add_u64 v[6:7], v[2:3], 3, v[6:7]
	v_and_b32_e32 v2, 0x3ff, v12
	v_mul_u32_u24_e32 v2, 0x437, v2
	v_lshrrev_b32_e32 v31, 18, v2
	v_mul_lo_u16_e32 v2, 0xf3, v31
	v_sub_u16_e32 v32, v12, v2
	v_mad_u64_u32 v[8:9], s[24:25], s16, v32, 0
	v_mov_b32_e32 v2, v9
	s_movk_i32 s0, 0x437
	v_mad_u64_u32 v[10:11], s[24:25], s17, v32, v[2:3]
	v_mov_b32_e32 v9, v10
	v_mul_u32_u24_sdwa v2, v12, s0 dst_sel:DWORD dst_unused:UNUSED_PAD src0_sel:WORD_1 src1_sel:DWORD
	v_lshrrev_b32_e32 v33, 18, v2
	v_mul_lo_u32 v2, s18, v31
	v_lshl_add_u64 v[8:9], v[8:9], 3, s[8:9]
	v_lshl_add_u64 v[8:9], v[2:3], 3, v[8:9]
	v_mul_lo_u16_e32 v2, 0xf3, v33
	v_sub_u16_sdwa v34, v12, v2 dst_sel:DWORD dst_unused:UNUSED_PAD src0_sel:WORD_1 src1_sel:DWORD
	v_mad_u64_u32 v[10:11], s[24:25], s16, v34, 0
	v_mov_b32_e32 v2, v11
	v_mad_u64_u32 v[12:13], s[24:25], s17, v34, v[2:3]
	v_mov_b32_e32 v11, v12
	v_mul_lo_u32 v2, s18, v33
	v_lshl_add_u64 v[10:11], v[10:11], 3, s[8:9]
	v_lshl_add_u64 v[10:11], v[2:3], 3, v[10:11]
	v_add_u16_e32 v2, 0x360, v0
	global_load_dwordx2 v[12:13], v[4:5], off
	global_load_dwordx2 v[14:15], v[6:7], off
	;; [unrolled: 1-line block ×4, first 2 shown]
	v_mul_u32_u24_e32 v4, 0x437, v2
	v_lshrrev_b32_e32 v35, 18, v4
	v_mul_lo_u16_e32 v4, 0xf3, v35
	v_sub_u16_e32 v36, v2, v4
	v_mad_u64_u32 v[4:5], s[24:25], s16, v36, 0
	v_mov_b32_e32 v2, v5
	v_mad_u64_u32 v[6:7], s[24:25], s17, v36, v[2:3]
	v_mov_b32_e32 v5, v6
	v_mul_lo_u32 v2, s18, v35
	v_lshl_add_u64 v[4:5], v[4:5], 3, s[8:9]
	v_lshl_add_u64 v[4:5], v[2:3], 3, v[4:5]
	v_add_u16_e32 v2, 0x438, v0
	v_mul_u32_u24_e32 v6, 0x437, v2
	v_lshrrev_b32_e32 v37, 18, v6
	v_mul_lo_u16_e32 v6, 0xf3, v37
	v_sub_u16_e32 v38, v2, v6
	v_mad_u64_u32 v[6:7], s[24:25], s16, v38, 0
	v_mov_b32_e32 v2, v7
	v_mad_u64_u32 v[8:9], s[24:25], s17, v38, v[2:3]
	v_mov_b32_e32 v7, v8
	v_mul_lo_u32 v2, s18, v37
	v_lshl_add_u64 v[6:7], v[6:7], 3, s[8:9]
	v_lshl_add_u64 v[6:7], v[2:3], 3, v[6:7]
	v_add_u16_e32 v2, 0x510, v0
	;; [unrolled: 12-line block ×4, first 2 shown]
	global_load_dwordx2 v[20:21], v[4:5], off
	global_load_dwordx2 v[22:23], v[6:7], off
	;; [unrolled: 1-line block ×4, first 2 shown]
	v_mul_u32_u24_e32 v4, 0x437, v2
	v_lshrrev_b32_e32 v8, 18, v4
	v_mul_lo_u16_e32 v4, 0xf3, v8
	v_sub_u16_e32 v9, v2, v4
	v_mad_u64_u32 v[4:5], s[24:25], s16, v9, 0
	v_mov_b32_e32 v2, v5
	v_mad_u64_u32 v[6:7], s[16:17], s17, v9, v[2:3]
	v_mov_b32_e32 v5, v6
	v_mul_lo_u32 v2, s18, v8
	v_lshl_add_u64 v[4:5], v[4:5], 3, s[8:9]
	v_lshl_add_u64 v[4:5], v[2:3], 3, v[4:5]
	global_load_dwordx2 v[4:5], v[4:5], off
	v_mul_u32_u24_e32 v1, 0x7a0, v1
	v_lshlrev_b32_e32 v7, 3, v28
	v_add3_u32 v1, 0, v1, v7
	v_lshlrev_b32_e32 v7, 3, v30
	s_mov_b32 s0, 0x5040100
	s_waitcnt vmcnt(8)
	ds_write_b64 v1, v[12:13]
	v_mul_u32_u24_e32 v1, 0x7a0, v29
	v_add3_u32 v1, 0, v1, v7
	s_movk_i32 s7, 0x7a0
	s_waitcnt vmcnt(7)
	ds_write_b64 v1, v[14:15]
	v_perm_b32 v1, v33, v31, s0
	v_pk_mul_lo_u16 v1, v1, s7 op_sel_hi:[1,0]
	v_lshlrev_b32_e32 v10, 3, v32
	v_and_b32_e32 v7, 0xffe0, v1
	v_add3_u32 v7, 0, v7, v10
	s_waitcnt vmcnt(6)
	ds_write_b64 v7, v[16:17]
	v_lshrrev_b32_e32 v1, 16, v1
	v_lshlrev_b32_e32 v7, 3, v34
	v_add3_u32 v1, 0, v1, v7
	s_waitcnt vmcnt(5)
	ds_write_b64 v1, v[18:19]
	v_mul_u32_u24_e32 v1, 0x7a0, v35
	v_lshlrev_b32_e32 v7, 3, v36
	v_add3_u32 v1, 0, v1, v7
	v_lshlrev_b32_e32 v7, 3, v38
	v_mul_u32_u24_e32 v2, 0x97c, v0
	v_mov_b32_e32 v6, 7
	v_and_b32_sdwa v6, v2, v6 dst_sel:DWORD dst_unused:UNUSED_PAD src0_sel:WORD_1 src1_sel:DWORD
	v_mul_lo_u16_e32 v6, 0xf4, v6
	s_mov_b32 s2, 0x3f5db3d7
	s_movk_i32 s0, 0xab
	s_waitcnt vmcnt(4)
	ds_write_b64 v1, v[20:21]
	v_mul_u32_u24_e32 v1, 0x7a0, v37
	v_add3_u32 v1, 0, v1, v7
	s_waitcnt vmcnt(3)
	ds_write_b64 v1, v[22:23]
	v_mul_u32_u24_e32 v1, 0x7a0, v39
	v_lshlrev_b32_e32 v7, 3, v40
	v_add3_u32 v1, 0, v1, v7
	s_waitcnt vmcnt(2)
	ds_write_b64 v1, v[24:25]
	v_mul_u32_u24_e32 v1, 0x7a0, v41
	v_lshlrev_b32_e32 v7, 3, v42
	v_add3_u32 v1, 0, v1, v7
	s_waitcnt vmcnt(1)
	ds_write_b64 v1, v[26:27]
	v_mul_u32_u24_e32 v1, 0x7a0, v8
	v_lshlrev_b32_e32 v7, 3, v9
	v_add3_u32 v1, 0, v1, v7
	v_lshlrev_b32_e32 v39, 3, v6
	v_add_u32_e32 v40, 0, v39
	s_waitcnt vmcnt(0)
	ds_write_b64 v1, v[4:5]
	v_mov_b32_e32 v1, 27
	v_mul_lo_u16_sdwa v1, v2, v1 dst_sel:DWORD dst_unused:UNUSED_PAD src0_sel:WORD_1 src1_sel:DWORD
	v_sub_u16_e32 v38, v0, v1
	v_lshlrev_b32_e32 v1, 3, v38
	v_add_u32_e32 v2, v40, v1
	s_waitcnt lgkmcnt(0)
	s_barrier
	v_add3_u32 v1, 0, v1, v39
	ds_read_b64 v[14:15], v2
	ds_read2_b64 v[6:9], v1 offset0:81 offset1:108
	ds_read2_b64 v[10:13], v1 offset0:135 offset1:162
	v_lshlrev_b32_e32 v4, 4, v38
	v_add_u32_e32 v28, v1, v4
	v_add_u32_e32 v5, 54, v38
	s_waitcnt lgkmcnt(1)
	v_pk_add_f32 v[16:17], v[14:15], v[6:7]
	v_mov_b32_e32 v41, 4
	s_waitcnt lgkmcnt(0)
	v_pk_add_f32 v[20:21], v[16:17], v[12:13]
	v_pk_add_f32 v[16:17], v[6:7], v[12:13]
	v_pk_add_f32 v[6:7], v[6:7], v[12:13] neg_lo:[0,1] neg_hi:[0,1]
	v_pk_fma_f32 v[22:23], v[16:17], 0.5, v[14:15] op_sel_hi:[1,0,1] neg_lo:[1,0,0] neg_hi:[1,0,0]
	ds_read2_b64 v[12:15], v1 offset0:27 offset1:54
	ds_read2_b64 v[16:19], v1 offset0:189 offset1:216
	v_pk_mul_f32 v[6:7], v[6:7], s[2:3] op_sel_hi:[1,0]
	s_waitcnt lgkmcnt(0)
	v_pk_add_f32 v[24:25], v[22:23], v[6:7] op_sel:[0,1] op_sel_hi:[1,0] neg_lo:[0,1] neg_hi:[0,1]
	v_pk_add_f32 v[6:7], v[22:23], v[6:7] op_sel:[0,1] op_sel_hi:[1,0]
	v_pk_add_f32 v[22:23], v[12:13], v[8:9]
	v_pk_add_f32 v[26:27], v[8:9], v[16:17]
	v_pk_add_f32 v[8:9], v[8:9], v[16:17] neg_lo:[0,1] neg_hi:[0,1]
	v_pk_fma_f32 v[12:13], v[26:27], 0.5, v[12:13] op_sel_hi:[1,0,1] neg_lo:[1,0,0] neg_hi:[1,0,0]
	v_pk_mul_f32 v[8:9], v[8:9], s[2:3] op_sel_hi:[1,0]
	v_pk_add_f32 v[22:23], v[22:23], v[16:17]
	v_pk_add_f32 v[16:17], v[12:13], v[8:9] op_sel:[0,1] op_sel_hi:[1,0] neg_lo:[0,1] neg_hi:[0,1]
	v_pk_add_f32 v[8:9], v[12:13], v[8:9] op_sel:[0,1] op_sel_hi:[1,0]
	v_mov_b32_e32 v26, v24
	v_mov_b32_e32 v27, v7
	s_barrier
	ds_write2_b64 v28, v[20:21], v[26:27] offset1:1
	v_mov_b32_e32 v7, v25
	v_mov_b32_e32 v21, v9
	;; [unrolled: 1-line block ×3, first 2 shown]
	ds_write2_b64 v28, v[6:7], v[8:9] offset0:2 offset1:83
	v_pk_add_f32 v[6:7], v[10:11], v[18:19]
	v_pk_add_f32 v[8:9], v[10:11], v[18:19] neg_lo:[0,1] neg_hi:[0,1]
	v_pk_fma_f32 v[6:7], v[6:7], 0.5, v[14:15] op_sel_hi:[1,0,1] neg_lo:[1,0,0] neg_hi:[1,0,0]
	v_pk_mul_f32 v[8:9], v[8:9], s[2:3] op_sel_hi:[1,0]
	v_pk_add_f32 v[12:13], v[14:15], v[10:11]
	v_pk_add_f32 v[10:11], v[6:7], v[8:9] op_sel:[0,1] op_sel_hi:[1,0] neg_lo:[0,1] neg_hi:[0,1]
	v_pk_add_f32 v[6:7], v[6:7], v[8:9] op_sel:[0,1] op_sel_hi:[1,0]
	v_add_u32_e32 v42, 27, v38
	v_mov_b32_e32 v9, v7
	v_mov_b32_e32 v7, v11
	ds_write_b64 v28, v[6:7] offset:1312
	v_mul_lo_u16_sdwa v6, v5, s0 dst_sel:DWORD dst_unused:UNUSED_PAD src0_sel:BYTE_0 src1_sel:DWORD
	v_lshrrev_b16_e32 v30, 9, v6
	v_mul_lo_u16_e32 v6, 3, v30
	v_sub_u16_e32 v31, v5, v6
	v_pk_add_f32 v[12:13], v[12:13], v[18:19]
	v_mov_b32_e32 v20, v16
	v_mov_b32_e32 v8, v10
	v_lshlrev_b32_sdwa v6, v41, v31 dst_sel:DWORD dst_unused:UNUSED_PAD src0_sel:DWORD src1_sel:BYTE_0
	v_mul_lo_u16_sdwa v10, v42, s0 dst_sel:DWORD dst_unused:UNUSED_PAD src0_sel:BYTE_0 src1_sel:DWORD
	ds_write2_b64 v28, v[22:23], v[20:21] offset0:81 offset1:82
	ds_write2_b64 v28, v[12:13], v[8:9] offset0:162 offset1:163
	s_waitcnt lgkmcnt(0)
	s_barrier
	global_load_dwordx4 v[6:9], v6, s[4:5]
	v_lshrrev_b16_e32 v32, 9, v10
	v_mul_lo_u16_e32 v10, 3, v32
	v_mul_lo_u16_sdwa v14, v38, s0 dst_sel:DWORD dst_unused:UNUSED_PAD src0_sel:BYTE_0 src1_sel:DWORD
	v_sub_u16_e32 v33, v42, v10
	v_lshrrev_b16_e32 v34, 9, v14
	v_lshlrev_b32_sdwa v10, v41, v33 dst_sel:DWORD dst_unused:UNUSED_PAD src0_sel:DWORD src1_sel:BYTE_0
	global_load_dwordx4 v[10:13], v10, s[4:5]
	v_mul_lo_u16_e32 v14, 3, v34
	v_sub_u16_e32 v35, v38, v14
	v_lshlrev_b32_sdwa v14, v41, v35 dst_sel:DWORD dst_unused:UNUSED_PAD src0_sel:DWORD src1_sel:BYTE_0
	global_load_dwordx4 v[14:17], v14, s[4:5]
	ds_read2_b64 v[18:21], v1 offset0:81 offset1:108
	ds_read2_b64 v[22:25], v1 offset0:135 offset1:162
	;; [unrolled: 1-line block ×3, first 2 shown]
	s_movk_i32 s0, 0x48
	v_mad_u32_u24 v34, v34, s0, 0
	v_lshlrev_b32_sdwa v35, v43, v35 dst_sel:DWORD dst_unused:UNUSED_PAD src0_sel:DWORD src1_sel:BYTE_0
	v_add3_u32 v44, v34, v35, v39
	v_mad_u32_u24 v32, v32, s0, 0
	v_lshlrev_b32_sdwa v33, v43, v33 dst_sel:DWORD dst_unused:UNUSED_PAD src0_sel:DWORD src1_sel:BYTE_0
	v_mad_u32_u24 v30, v30, s0, 0
	v_lshlrev_b32_sdwa v31, v43, v31 dst_sel:DWORD dst_unused:UNUSED_PAD src0_sel:DWORD src1_sel:BYTE_0
	v_add3_u32 v45, v32, v33, v39
	v_add3_u32 v46, v30, v31, v39
	ds_read2_b64 v[30:33], v1 offset0:27 offset1:54
	s_movk_i32 s0, 0xd8
	s_waitcnt vmcnt(2) lgkmcnt(2)
	v_pk_mul_f32 v[34:35], v[6:7], v[22:23] op_sel:[0,1]
	s_nop 0
	v_pk_fma_f32 v[36:37], v[6:7], v[22:23], v[34:35] op_sel:[0,0,1] op_sel_hi:[1,1,0]
	v_pk_fma_f32 v[6:7], v[6:7], v[22:23], v[34:35] op_sel:[0,0,1] op_sel_hi:[1,0,0] neg_lo:[1,0,0] neg_hi:[1,0,0]
	s_nop 0
	v_mov_b32_e32 v6, v9
	v_mov_b32_e32 v37, v7
	s_waitcnt lgkmcnt(1)
	v_pk_mul_f32 v[6:7], v[28:29], v[6:7] op_sel_hi:[1,0]
	s_nop 0
	v_pk_fma_f32 v[22:23], v[28:29], v[8:9], v[6:7] op_sel:[0,0,1] op_sel_hi:[1,1,0]
	v_pk_fma_f32 v[6:7], v[28:29], v[8:9], v[6:7] op_sel:[0,0,1] op_sel_hi:[1,0,0] neg_lo:[0,0,1] neg_hi:[0,0,1]
	s_waitcnt vmcnt(1)
	v_pk_mul_f32 v[8:9], v[10:11], v[20:21] op_sel:[0,1]
	v_mov_b32_e32 v23, v7
	v_pk_fma_f32 v[28:29], v[10:11], v[20:21], v[8:9] op_sel:[0,0,1] op_sel_hi:[1,1,0]
	v_pk_fma_f32 v[8:9], v[10:11], v[20:21], v[8:9] op_sel:[0,0,1] op_sel_hi:[1,0,0] neg_lo:[1,0,0] neg_hi:[1,0,0]
	s_waitcnt vmcnt(0)
	v_pk_mul_f32 v[20:21], v[14:15], v[18:19] op_sel:[0,1]
	v_mov_b32_e32 v29, v9
	v_pk_mul_f32 v[8:9], v[12:13], v[26:27] op_sel:[0,1]
	s_waitcnt lgkmcnt(0)
	v_pk_add_f32 v[6:7], v[32:33], v[36:37]
	v_pk_fma_f32 v[10:11], v[12:13], v[26:27], v[8:9] op_sel:[0,0,1] op_sel_hi:[1,1,0]
	v_pk_fma_f32 v[8:9], v[12:13], v[26:27], v[8:9] op_sel:[0,0,1] op_sel_hi:[1,0,0] neg_lo:[1,0,0] neg_hi:[1,0,0]
	ds_read_b64 v[12:13], v2
	v_pk_fma_f32 v[26:27], v[14:15], v[18:19], v[20:21] op_sel:[0,0,1] op_sel_hi:[1,1,0]
	v_pk_fma_f32 v[14:15], v[14:15], v[18:19], v[20:21] op_sel:[0,0,1] op_sel_hi:[1,0,0] neg_lo:[1,0,0] neg_hi:[1,0,0]
	v_mov_b32_e32 v11, v9
	v_mov_b32_e32 v27, v15
	v_pk_mul_f32 v[14:15], v[16:17], v[24:25] op_sel:[0,1]
	v_pk_add_f32 v[8:9], v[30:31], v[28:29]
	v_pk_fma_f32 v[18:19], v[16:17], v[24:25], v[14:15] op_sel:[0,0,1] op_sel_hi:[1,1,0]
	v_pk_fma_f32 v[14:15], v[16:17], v[24:25], v[14:15] op_sel:[0,0,1] op_sel_hi:[1,0,0] neg_lo:[1,0,0] neg_hi:[1,0,0]
	v_pk_add_f32 v[8:9], v[8:9], v[10:11]
	v_mov_b32_e32 v19, v15
	v_pk_add_f32 v[16:17], v[26:27], v[18:19]
	s_waitcnt lgkmcnt(0)
	v_pk_add_f32 v[14:15], v[12:13], v[26:27]
	v_pk_fma_f32 v[12:13], v[16:17], 0.5, v[12:13] op_sel_hi:[1,0,1] neg_lo:[1,0,0] neg_hi:[1,0,0]
	v_pk_add_f32 v[16:17], v[26:27], v[18:19] neg_lo:[0,1] neg_hi:[0,1]
	v_pk_add_f32 v[14:15], v[14:15], v[18:19]
	v_pk_mul_f32 v[16:17], v[16:17], s[2:3] op_sel_hi:[1,0]
	s_nop 0
	v_pk_add_f32 v[18:19], v[12:13], v[16:17] op_sel:[0,1] op_sel_hi:[1,0] neg_lo:[0,1] neg_hi:[0,1]
	v_pk_add_f32 v[12:13], v[12:13], v[16:17] op_sel:[0,1] op_sel_hi:[1,0]
	s_barrier
	v_mov_b32_e32 v17, v13
	v_mov_b32_e32 v13, v19
	ds_write_b64 v44, v[12:13] offset:48
	v_pk_add_f32 v[12:13], v[28:29], v[10:11]
	v_pk_add_f32 v[10:11], v[28:29], v[10:11] neg_lo:[0,1] neg_hi:[0,1]
	v_mov_b32_e32 v16, v18
	v_pk_fma_f32 v[12:13], v[12:13], 0.5, v[30:31] op_sel_hi:[1,0,1] neg_lo:[1,0,0] neg_hi:[1,0,0]
	v_pk_mul_f32 v[10:11], v[10:11], s[2:3] op_sel_hi:[1,0]
	ds_write2_b64 v44, v[14:15], v[16:17] offset1:3
	v_pk_add_f32 v[14:15], v[12:13], v[10:11] op_sel:[0,1] op_sel_hi:[1,0] neg_lo:[0,1] neg_hi:[0,1]
	v_pk_add_f32 v[10:11], v[12:13], v[10:11] op_sel:[0,1] op_sel_hi:[1,0]
	v_mov_b32_e32 v12, v14
	v_mov_b32_e32 v13, v11
	;; [unrolled: 1-line block ×3, first 2 shown]
	ds_write2_b64 v45, v[8:9], v[12:13] offset1:3
	ds_write_b64 v45, v[10:11] offset:48
	v_pk_add_f32 v[8:9], v[36:37], v[22:23]
	v_pk_add_f32 v[10:11], v[36:37], v[22:23] neg_lo:[0,1] neg_hi:[0,1]
	v_pk_fma_f32 v[8:9], v[8:9], 0.5, v[32:33] op_sel_hi:[1,0,1] neg_lo:[1,0,0] neg_hi:[1,0,0]
	v_pk_mul_f32 v[10:11], v[10:11], s[2:3] op_sel_hi:[1,0]
	v_pk_add_f32 v[6:7], v[6:7], v[22:23]
	v_pk_add_f32 v[12:13], v[8:9], v[10:11] op_sel:[0,1] op_sel_hi:[1,0] neg_lo:[0,1] neg_hi:[0,1]
	v_pk_add_f32 v[8:9], v[8:9], v[10:11] op_sel:[0,1] op_sel_hi:[1,0]
	v_mov_b32_e32 v10, v12
	v_mov_b32_e32 v11, v9
	;; [unrolled: 1-line block ×3, first 2 shown]
	ds_write2_b64 v46, v[6:7], v[10:11] offset1:3
	v_mul_lo_u16_sdwa v6, v5, v14 dst_sel:DWORD dst_unused:UNUSED_PAD src0_sel:BYTE_0 src1_sel:DWORD
	v_lshrrev_b16_e32 v30, 9, v6
	v_mul_lo_u16_e32 v6, 9, v30
	v_sub_u16_e32 v31, v5, v6
	v_mov_b32_e32 v9, v13
	v_lshlrev_b32_sdwa v6, v41, v31 dst_sel:DWORD dst_unused:UNUSED_PAD src0_sel:DWORD src1_sel:BYTE_0
	v_mul_lo_u16_sdwa v10, v42, v14 dst_sel:DWORD dst_unused:UNUSED_PAD src0_sel:BYTE_0 src1_sel:DWORD
	ds_write_b64 v46, v[8:9] offset:48
	s_waitcnt lgkmcnt(0)
	s_barrier
	global_load_dwordx4 v[6:9], v6, s[4:5] offset:48
	v_lshrrev_b16_e32 v32, 9, v10
	v_mul_lo_u16_e32 v10, 9, v32
	v_mul_lo_u16_sdwa v14, v38, v14 dst_sel:DWORD dst_unused:UNUSED_PAD src0_sel:BYTE_0 src1_sel:DWORD
	v_sub_u16_e32 v33, v42, v10
	v_lshrrev_b16_e32 v34, 9, v14
	v_lshlrev_b32_sdwa v10, v41, v33 dst_sel:DWORD dst_unused:UNUSED_PAD src0_sel:DWORD src1_sel:BYTE_0
	global_load_dwordx4 v[10:13], v10, s[4:5] offset:48
	v_mul_lo_u16_e32 v14, 9, v34
	v_sub_u16_e32 v35, v38, v14
	v_lshlrev_b32_sdwa v14, v41, v35 dst_sel:DWORD dst_unused:UNUSED_PAD src0_sel:DWORD src1_sel:BYTE_0
	global_load_dwordx4 v[14:17], v14, s[4:5] offset:48
	ds_read2_b64 v[18:21], v1 offset0:81 offset1:108
	ds_read2_b64 v[22:25], v1 offset0:135 offset1:162
	;; [unrolled: 1-line block ×3, first 2 shown]
	v_mad_u32_u24 v34, v34, s0, 0
	v_lshlrev_b32_sdwa v35, v43, v35 dst_sel:DWORD dst_unused:UNUSED_PAD src0_sel:DWORD src1_sel:BYTE_0
	v_add3_u32 v38, v34, v35, v39
	v_mad_u32_u24 v32, v32, s0, 0
	v_lshlrev_b32_sdwa v33, v43, v33 dst_sel:DWORD dst_unused:UNUSED_PAD src0_sel:DWORD src1_sel:BYTE_0
	v_mad_u32_u24 v30, v30, s0, 0
	v_lshlrev_b32_sdwa v31, v43, v31 dst_sel:DWORD dst_unused:UNUSED_PAD src0_sel:DWORD src1_sel:BYTE_0
	v_add3_u32 v41, v32, v33, v39
	v_add3_u32 v39, v30, v31, v39
	ds_read2_b64 v[30:33], v1 offset0:27 offset1:54
	s_mul_i32 s0, s6, s19
	s_waitcnt vmcnt(2) lgkmcnt(2)
	v_pk_mul_f32 v[34:35], v[6:7], v[22:23] op_sel:[0,1]
	s_nop 0
	v_pk_fma_f32 v[36:37], v[6:7], v[22:23], v[34:35] op_sel:[0,0,1] op_sel_hi:[1,1,0]
	v_pk_fma_f32 v[6:7], v[6:7], v[22:23], v[34:35] op_sel:[0,0,1] op_sel_hi:[1,0,0] neg_lo:[1,0,0] neg_hi:[1,0,0]
	s_nop 0
	v_mov_b32_e32 v6, v9
	v_mov_b32_e32 v37, v7
	s_waitcnt lgkmcnt(1)
	v_pk_mul_f32 v[6:7], v[28:29], v[6:7] op_sel_hi:[1,0]
	s_nop 0
	v_pk_fma_f32 v[22:23], v[28:29], v[8:9], v[6:7] op_sel:[0,0,1] op_sel_hi:[1,1,0]
	v_pk_fma_f32 v[6:7], v[28:29], v[8:9], v[6:7] op_sel:[0,0,1] op_sel_hi:[1,0,0] neg_lo:[0,0,1] neg_hi:[0,0,1]
	s_waitcnt vmcnt(1)
	v_pk_mul_f32 v[8:9], v[10:11], v[20:21] op_sel:[0,1]
	v_mov_b32_e32 v23, v7
	v_pk_fma_f32 v[28:29], v[10:11], v[20:21], v[8:9] op_sel:[0,0,1] op_sel_hi:[1,1,0]
	v_pk_fma_f32 v[8:9], v[10:11], v[20:21], v[8:9] op_sel:[0,0,1] op_sel_hi:[1,0,0] neg_lo:[1,0,0] neg_hi:[1,0,0]
	s_waitcnt vmcnt(0)
	v_pk_mul_f32 v[20:21], v[14:15], v[18:19] op_sel:[0,1]
	v_mov_b32_e32 v29, v9
	v_pk_mul_f32 v[8:9], v[12:13], v[26:27] op_sel:[0,1]
	s_waitcnt lgkmcnt(0)
	v_pk_add_f32 v[6:7], v[32:33], v[36:37]
	v_pk_fma_f32 v[10:11], v[12:13], v[26:27], v[8:9] op_sel:[0,0,1] op_sel_hi:[1,1,0]
	v_pk_fma_f32 v[8:9], v[12:13], v[26:27], v[8:9] op_sel:[0,0,1] op_sel_hi:[1,0,0] neg_lo:[1,0,0] neg_hi:[1,0,0]
	ds_read_b64 v[12:13], v2
	v_pk_fma_f32 v[26:27], v[14:15], v[18:19], v[20:21] op_sel:[0,0,1] op_sel_hi:[1,1,0]
	v_pk_fma_f32 v[14:15], v[14:15], v[18:19], v[20:21] op_sel:[0,0,1] op_sel_hi:[1,0,0] neg_lo:[1,0,0] neg_hi:[1,0,0]
	v_mov_b32_e32 v11, v9
	v_mov_b32_e32 v27, v15
	v_pk_mul_f32 v[14:15], v[16:17], v[24:25] op_sel:[0,1]
	v_pk_add_f32 v[8:9], v[30:31], v[28:29]
	v_pk_fma_f32 v[18:19], v[16:17], v[24:25], v[14:15] op_sel:[0,0,1] op_sel_hi:[1,1,0]
	v_pk_fma_f32 v[14:15], v[16:17], v[24:25], v[14:15] op_sel:[0,0,1] op_sel_hi:[1,0,0] neg_lo:[1,0,0] neg_hi:[1,0,0]
	v_pk_add_f32 v[8:9], v[8:9], v[10:11]
	v_mov_b32_e32 v19, v15
	v_pk_add_f32 v[16:17], v[26:27], v[18:19]
	s_waitcnt lgkmcnt(0)
	v_pk_add_f32 v[14:15], v[12:13], v[26:27]
	v_pk_fma_f32 v[12:13], v[16:17], 0.5, v[12:13] op_sel_hi:[1,0,1] neg_lo:[1,0,0] neg_hi:[1,0,0]
	v_pk_add_f32 v[16:17], v[26:27], v[18:19] neg_lo:[0,1] neg_hi:[0,1]
	v_pk_add_f32 v[14:15], v[14:15], v[18:19]
	v_pk_mul_f32 v[16:17], v[16:17], s[2:3] op_sel_hi:[1,0]
	s_nop 0
	v_pk_add_f32 v[18:19], v[12:13], v[16:17] op_sel:[0,1] op_sel_hi:[1,0] neg_lo:[0,1] neg_hi:[0,1]
	v_pk_add_f32 v[12:13], v[12:13], v[16:17] op_sel:[0,1] op_sel_hi:[1,0]
	s_barrier
	v_mov_b32_e32 v17, v13
	v_mov_b32_e32 v13, v19
	ds_write_b64 v38, v[12:13] offset:144
	v_pk_add_f32 v[12:13], v[28:29], v[10:11]
	v_pk_add_f32 v[10:11], v[28:29], v[10:11] neg_lo:[0,1] neg_hi:[0,1]
	v_mov_b32_e32 v16, v18
	v_pk_fma_f32 v[12:13], v[12:13], 0.5, v[30:31] op_sel_hi:[1,0,1] neg_lo:[1,0,0] neg_hi:[1,0,0]
	v_pk_mul_f32 v[10:11], v[10:11], s[2:3] op_sel_hi:[1,0]
	ds_write2_b64 v38, v[14:15], v[16:17] offset1:9
	v_pk_add_f32 v[14:15], v[12:13], v[10:11] op_sel:[0,1] op_sel_hi:[1,0] neg_lo:[0,1] neg_hi:[0,1]
	v_pk_add_f32 v[10:11], v[12:13], v[10:11] op_sel:[0,1] op_sel_hi:[1,0]
	v_mov_b32_e32 v12, v14
	v_mov_b32_e32 v13, v11
	v_mov_b32_e32 v11, v15
	ds_write2_b64 v41, v[8:9], v[12:13] offset1:9
	ds_write_b64 v41, v[10:11] offset:144
	v_pk_add_f32 v[8:9], v[36:37], v[22:23]
	v_pk_add_f32 v[10:11], v[36:37], v[22:23] neg_lo:[0,1] neg_hi:[0,1]
	v_pk_fma_f32 v[8:9], v[8:9], 0.5, v[32:33] op_sel_hi:[1,0,1] neg_lo:[1,0,0] neg_hi:[1,0,0]
	v_pk_mul_f32 v[10:11], v[10:11], s[2:3] op_sel_hi:[1,0]
	v_pk_add_f32 v[6:7], v[6:7], v[22:23]
	v_pk_add_f32 v[12:13], v[8:9], v[10:11] op_sel:[0,1] op_sel_hi:[1,0] neg_lo:[0,1] neg_hi:[0,1]
	v_pk_add_f32 v[8:9], v[8:9], v[10:11] op_sel:[0,1] op_sel_hi:[1,0]
	v_mov_b32_e32 v10, v12
	v_mov_b32_e32 v11, v9
	;; [unrolled: 1-line block ×3, first 2 shown]
	ds_write2_b64 v39, v[6:7], v[10:11] offset1:9
	ds_write_b64 v39, v[8:9] offset:144
	s_waitcnt lgkmcnt(0)
	s_barrier
	global_load_dwordx4 v[6:9], v4, s[4:5] offset:192
	v_mov_b32_e32 v10, 19
	v_mul_lo_u16_sdwa v10, v5, v10 dst_sel:DWORD dst_unused:UNUSED_PAD src0_sel:BYTE_0 src1_sel:DWORD
	v_lshrrev_b16_e32 v10, 9, v10
	v_mul_lo_u16_e32 v10, 27, v10
	v_sub_u16_e32 v10, v5, v10
	v_and_b32_e32 v36, 0xff, v10
	v_lshlrev_b32_e32 v10, 4, v36
	global_load_dwordx4 v[10:13], v10, s[4:5] offset:192
	ds_read2_b64 v[14:17], v1 offset0:81 offset1:108
	ds_read2_b64 v[18:21], v1 offset0:135 offset1:162
	;; [unrolled: 1-line block ×3, first 2 shown]
	ds_read_b64 v[26:27], v2
	s_waitcnt vmcnt(1) lgkmcnt(3)
	v_pk_mul_f32 v[28:29], v[6:7], v[14:15] op_sel:[0,1]
	s_nop 0
	v_pk_fma_f32 v[30:31], v[6:7], v[14:15], v[28:29] op_sel:[0,0,1] op_sel_hi:[1,1,0]
	v_pk_fma_f32 v[14:15], v[6:7], v[14:15], v[28:29] op_sel:[0,0,1] op_sel_hi:[1,0,0] neg_lo:[1,0,0] neg_hi:[1,0,0]
	v_pk_mul_f32 v[32:33], v[6:7], v[16:17] op_sel:[0,1]
	v_mov_b32_e32 v31, v15
	s_waitcnt lgkmcnt(2)
	v_pk_mul_f32 v[14:15], v[8:9], v[20:21] op_sel:[0,1]
	v_pk_fma_f32 v[34:35], v[6:7], v[16:17], v[32:33] op_sel:[0,0,1] op_sel_hi:[1,1,0]
	v_pk_fma_f32 v[28:29], v[8:9], v[20:21], v[14:15] op_sel:[0,0,1] op_sel_hi:[1,1,0]
	v_pk_fma_f32 v[14:15], v[8:9], v[20:21], v[14:15] op_sel:[0,0,1] op_sel_hi:[1,0,0] neg_lo:[1,0,0] neg_hi:[1,0,0]
	v_pk_fma_f32 v[6:7], v[6:7], v[16:17], v[32:33] op_sel:[0,0,1] op_sel_hi:[1,0,0] neg_lo:[1,0,0] neg_hi:[1,0,0]
	v_mov_b32_e32 v29, v15
	v_pk_add_f32 v[20:21], v[30:31], v[28:29]
	s_waitcnt lgkmcnt(0)
	v_pk_add_f32 v[14:15], v[26:27], v[30:31]
	v_pk_fma_f32 v[20:21], v[20:21], 0.5, v[26:27] op_sel_hi:[1,0,1] neg_lo:[1,0,0] neg_hi:[1,0,0]
	v_pk_add_f32 v[26:27], v[30:31], v[28:29] neg_lo:[0,1] neg_hi:[0,1]
	v_pk_add_f32 v[14:15], v[14:15], v[28:29]
	v_pk_mul_f32 v[26:27], v[26:27], s[2:3] op_sel_hi:[1,0]
	v_mov_b32_e32 v35, v7
	v_pk_add_f32 v[30:31], v[20:21], v[26:27] op_sel:[0,1] op_sel_hi:[1,0] neg_lo:[0,1] neg_hi:[0,1]
	v_pk_add_f32 v[20:21], v[20:21], v[26:27] op_sel:[0,1] op_sel_hi:[1,0]
	ds_read2_b64 v[26:29], v1 offset0:27 offset1:54
	v_pk_mul_f32 v[6:7], v[8:9], v[22:23] op_sel:[0,1]
	s_waitcnt lgkmcnt(0)
	v_pk_fma_f32 v[16:17], v[8:9], v[22:23], v[6:7] op_sel:[0,0,1] op_sel_hi:[1,1,0]
	v_pk_fma_f32 v[6:7], v[8:9], v[22:23], v[6:7] op_sel:[0,0,1] op_sel_hi:[1,0,0] neg_lo:[1,0,0] neg_hi:[1,0,0]
	s_barrier
	v_mov_b32_e32 v17, v7
	v_pk_add_f32 v[6:7], v[26:27], v[34:35]
	v_pk_add_f32 v[8:9], v[34:35], v[16:17]
	;; [unrolled: 1-line block ×3, first 2 shown]
	v_pk_add_f32 v[16:17], v[34:35], v[16:17] neg_lo:[0,1] neg_hi:[0,1]
	v_pk_fma_f32 v[8:9], v[8:9], 0.5, v[26:27] op_sel_hi:[1,0,1] neg_lo:[1,0,0] neg_hi:[1,0,0]
	v_pk_mul_f32 v[16:17], v[16:17], s[2:3] op_sel_hi:[1,0]
	s_nop 0
	v_pk_add_f32 v[22:23], v[8:9], v[16:17] op_sel:[0,1] op_sel_hi:[1,0] neg_lo:[0,1] neg_hi:[0,1]
	v_pk_add_f32 v[8:9], v[8:9], v[16:17] op_sel:[0,1] op_sel_hi:[1,0]
	s_waitcnt vmcnt(0)
	v_pk_mul_f32 v[16:17], v[10:11], v[18:19] op_sel:[0,1]
	v_lshl_add_u32 v32, v36, 3, v40
	v_pk_fma_f32 v[26:27], v[10:11], v[18:19], v[16:17] op_sel:[0,0,1] op_sel_hi:[1,1,0]
	v_pk_fma_f32 v[10:11], v[10:11], v[18:19], v[16:17] op_sel:[0,0,1] op_sel_hi:[1,0,0] neg_lo:[1,0,0] neg_hi:[1,0,0]
	s_nop 0
	v_mov_b32_e32 v10, v13
	v_mov_b32_e32 v27, v11
	v_pk_mul_f32 v[10:11], v[24:25], v[10:11] op_sel_hi:[1,0]
	s_nop 0
	v_pk_fma_f32 v[16:17], v[24:25], v[12:13], v[10:11] op_sel:[0,0,1] op_sel_hi:[1,1,0]
	v_pk_fma_f32 v[10:11], v[24:25], v[12:13], v[10:11] op_sel:[0,0,1] op_sel_hi:[1,0,0] neg_lo:[0,0,1] neg_hi:[0,0,1]
	v_mov_b32_e32 v13, v21
	v_mov_b32_e32 v21, v31
	;; [unrolled: 1-line block ×3, first 2 shown]
	ds_write2_b64 v1, v[20:21], v[6:7] offset0:54 offset1:81
	v_mov_b32_e32 v6, v22
	v_mov_b32_e32 v7, v9
	;; [unrolled: 1-line block ×3, first 2 shown]
	ds_write2_b64 v1, v[6:7], v[8:9] offset0:108 offset1:135
	v_pk_add_f32 v[6:7], v[26:27], v[16:17]
	v_pk_add_f32 v[8:9], v[26:27], v[16:17] neg_lo:[0,1] neg_hi:[0,1]
	v_mov_b32_e32 v12, v30
	v_pk_fma_f32 v[6:7], v[6:7], 0.5, v[28:29] op_sel_hi:[1,0,1] neg_lo:[1,0,0] neg_hi:[1,0,0]
	v_pk_mul_f32 v[8:9], v[8:9], s[2:3] op_sel_hi:[1,0]
	v_pk_add_f32 v[10:11], v[28:29], v[26:27]
	ds_write2_b64 v1, v[14:15], v[12:13] offset1:27
	v_pk_add_f32 v[12:13], v[6:7], v[8:9] op_sel:[0,1] op_sel_hi:[1,0] neg_lo:[0,1] neg_hi:[0,1]
	v_pk_add_f32 v[6:7], v[6:7], v[8:9] op_sel:[0,1] op_sel_hi:[1,0]
	v_pk_add_f32 v[10:11], v[10:11], v[16:17]
	v_mov_b32_e32 v8, v12
	v_mov_b32_e32 v9, v7
	;; [unrolled: 1-line block ×3, first 2 shown]
	ds_write2_b64 v32, v[10:11], v[8:9] offset0:162 offset1:189
	ds_write_b64 v32, v[6:7] offset:1728
	s_waitcnt lgkmcnt(0)
	s_barrier
	global_load_dwordx4 v[6:9], v4, s[4:5] offset:624
	v_lshlrev_b32_e32 v4, 4, v42
	global_load_dwordx4 v[10:13], v4, s[4:5] offset:624
	v_lshlrev_b32_e32 v4, 4, v5
	global_load_dwordx4 v[14:17], v4, s[4:5] offset:624
	ds_read2_b64 v[18:21], v1 offset0:81 offset1:108
	ds_read2_b64 v[22:25], v1 offset0:135 offset1:162
	ds_read2_b64 v[26:29], v1 offset0:189 offset1:216
	ds_read_b64 v[30:31], v2
	s_mul_i32 s4, s21, s14
	s_mul_i32 s14, s12, s22
	s_mov_b32 s5, s3
	s_waitcnt vmcnt(2) lgkmcnt(3)
	v_pk_mul_f32 v[4:5], v[6:7], v[18:19] op_sel:[0,1]
	s_nop 0
	v_pk_fma_f32 v[32:33], v[6:7], v[18:19], v[4:5] op_sel:[0,0,1] op_sel_hi:[1,1,0]
	v_pk_fma_f32 v[4:5], v[6:7], v[18:19], v[4:5] op_sel:[0,0,1] op_sel_hi:[1,0,0] neg_lo:[1,0,0] neg_hi:[1,0,0]
	s_waitcnt vmcnt(0)
	v_mov_b32_e32 v2, v17
	v_mov_b32_e32 v33, v5
	s_waitcnt lgkmcnt(2)
	v_pk_mul_f32 v[4:5], v[8:9], v[24:25] op_sel:[0,1]
	s_nop 0
	v_pk_fma_f32 v[18:19], v[8:9], v[24:25], v[4:5] op_sel:[0,0,1] op_sel_hi:[1,1,0]
	v_pk_fma_f32 v[4:5], v[8:9], v[24:25], v[4:5] op_sel:[0,0,1] op_sel_hi:[1,0,0] neg_lo:[1,0,0] neg_hi:[1,0,0]
	v_pk_mul_f32 v[24:25], v[10:11], v[20:21] op_sel:[0,1]
	v_mov_b32_e32 v19, v5
	s_waitcnt lgkmcnt(0)
	v_pk_add_f32 v[4:5], v[30:31], v[32:33]
	v_pk_fma_f32 v[34:35], v[10:11], v[20:21], v[24:25] op_sel:[0,0,1] op_sel_hi:[1,1,0]
	v_pk_add_f32 v[8:9], v[4:5], v[18:19]
	ds_read2_b64 v[4:7], v1 offset0:27 offset1:54
	v_pk_fma_f32 v[10:11], v[10:11], v[20:21], v[24:25] op_sel:[0,0,1] op_sel_hi:[1,0,0] neg_lo:[1,0,0] neg_hi:[1,0,0]
	s_waitcnt lgkmcnt(0)
	v_mov_b32_e32 v35, v11
	v_pk_mul_f32 v[10:11], v[12:13], v[26:27] op_sel:[0,1]
	s_barrier
	v_pk_fma_f32 v[20:21], v[12:13], v[26:27], v[10:11] op_sel:[0,0,1] op_sel_hi:[1,1,0]
	v_pk_fma_f32 v[10:11], v[12:13], v[26:27], v[10:11] op_sel:[0,0,1] op_sel_hi:[1,0,0] neg_lo:[1,0,0] neg_hi:[1,0,0]
	v_pk_mul_f32 v[12:13], v[14:15], v[22:23] op_sel:[0,1]
	v_mov_b32_e32 v21, v11
	v_pk_add_f32 v[10:11], v[4:5], v[34:35]
	v_pk_fma_f32 v[24:25], v[14:15], v[22:23], v[12:13] op_sel:[0,0,1] op_sel_hi:[1,1,0]
	v_pk_add_f32 v[10:11], v[10:11], v[20:21]
	v_pk_fma_f32 v[12:13], v[14:15], v[22:23], v[12:13] op_sel:[0,0,1] op_sel_hi:[1,0,0] neg_lo:[1,0,0] neg_hi:[1,0,0]
	ds_write2_b64 v1, v[8:9], v[10:11] offset1:27
	v_pk_add_f32 v[8:9], v[34:35], v[20:21]
	v_mov_b32_e32 v25, v13
	v_pk_mul_f32 v[12:13], v[28:29], v[2:3] op_sel_hi:[1,0]
	v_pk_fma_f32 v[4:5], v[8:9], 0.5, v[4:5] op_sel_hi:[1,0,1] neg_lo:[1,0,0] neg_hi:[1,0,0]
	v_pk_add_f32 v[8:9], v[34:35], v[20:21] neg_lo:[0,1] neg_hi:[0,1]
	v_pk_fma_f32 v[14:15], v[28:29], v[16:17], v[12:13] op_sel:[0,0,1] op_sel_hi:[1,1,0]
	v_pk_fma_f32 v[12:13], v[28:29], v[16:17], v[12:13] op_sel:[0,0,1] op_sel_hi:[1,0,0] neg_lo:[0,0,1] neg_hi:[0,0,1]
	v_pk_add_f32 v[16:17], v[32:33], v[18:19]
	v_pk_add_f32 v[18:19], v[32:33], v[18:19] neg_lo:[0,1] neg_hi:[0,1]
	v_pk_mul_f32 v[8:9], v[8:9], s[2:3] op_sel_hi:[1,0]
	v_pk_fma_f32 v[16:17], v[16:17], 0.5, v[30:31] op_sel_hi:[1,0,1] neg_lo:[1,0,0] neg_hi:[1,0,0]
	v_pk_mul_f32 v[18:19], v[18:19], s[2:3] op_sel_hi:[1,0]
	v_pk_add_f32 v[10:11], v[4:5], v[8:9] op_sel:[0,1] op_sel_hi:[1,0] neg_lo:[0,1] neg_hi:[0,1]
	v_pk_add_f32 v[4:5], v[4:5], v[8:9] op_sel:[0,1] op_sel_hi:[1,0]
	v_mov_b32_e32 v15, v13
	v_pk_add_f32 v[12:13], v[6:7], v[24:25]
	v_pk_add_f32 v[22:23], v[16:17], v[18:19] op_sel:[0,1] op_sel_hi:[1,0] neg_lo:[0,1] neg_hi:[0,1]
	v_pk_add_f32 v[16:17], v[16:17], v[18:19] op_sel:[0,1] op_sel_hi:[1,0]
	v_mov_b32_e32 v8, v10
	v_mov_b32_e32 v9, v5
	;; [unrolled: 1-line block ×3, first 2 shown]
	v_pk_add_f32 v[12:13], v[12:13], v[14:15]
	v_mov_b32_e32 v18, v22
	v_mov_b32_e32 v19, v17
	ds_write_b64 v1, v[8:9] offset:864
	ds_write_b64 v1, v[4:5] offset:1512
	ds_write2_b64 v1, v[12:13], v[18:19] offset0:54 offset1:81
	v_pk_add_f32 v[4:5], v[24:25], v[14:15]
	v_mov_b32_e32 v17, v23
	v_pk_fma_f32 v[4:5], v[4:5], 0.5, v[6:7] op_sel_hi:[1,0,1] neg_lo:[1,0,0] neg_hi:[1,0,0]
	v_pk_add_f32 v[6:7], v[24:25], v[14:15] neg_lo:[0,1] neg_hi:[0,1]
	s_nop 0
	v_pk_mul_f32 v[6:7], v[6:7], s[2:3] op_sel_hi:[1,0]
	s_nop 0
	v_pk_add_f32 v[8:9], v[4:5], v[6:7] op_sel:[0,1] op_sel_hi:[1,0] neg_lo:[0,1] neg_hi:[0,1]
	v_pk_add_f32 v[4:5], v[4:5], v[6:7] op_sel:[0,1] op_sel_hi:[1,0]
	v_mov_b32_e32 v6, v8
	v_mov_b32_e32 v7, v5
	;; [unrolled: 1-line block ×3, first 2 shown]
	v_and_b32_e32 v8, 7, v0
	ds_write2_b64 v1, v[6:7], v[16:17] offset0:135 offset1:162
	ds_write_b64 v1, v[4:5] offset:1728
	v_mad_u64_u32 v[4:5], s[8:9], s12, v8, 0
	v_lshrrev_b32_e32 v1, 3, v0
	v_mov_b32_e32 v2, v5
	v_mad_u64_u32 v[6:7], s[8:9], s13, v8, v[2:3]
	v_mul_lo_u32 v2, v1, s20
	v_mad_u32_u24 v1, v8, s7, 0
	s_lshl_b64 s[6:7], s[14:15], 3
	s_add_u32 s2, s10, s6
	v_mov_b32_e32 v5, v6
	v_and_b32_e32 v6, 0xf8, v0
	s_addc_u32 s6, s11, s7
	s_lshl_b64 s[4:5], s[4:5], 3
	v_add_u32_e32 v14, v1, v6
	s_add_u32 s2, s2, s4
	s_waitcnt lgkmcnt(0)
	s_barrier
	s_addc_u32 s4, s6, s5
	s_lshl_b64 s[0:1], s[0:1], 3
	ds_read2_b64 v[6:9], v14 offset1:27
	s_add_u32 s0, s2, s0
	s_addc_u32 s1, s4, s1
	v_lshl_add_u64 v[4:5], v[4:5], 3, s[0:1]
	v_lshl_add_u64 v[10:11], v[2:3], 3, v[4:5]
	s_waitcnt lgkmcnt(0)
	global_store_dwordx2 v[10:11], v[6:7], off
	ds_read2_b64 v[10:13], v14 offset0:54 offset1:81
	s_mul_i32 s0, s20, 27
	v_add_u32_e32 v2, s0, v2
	v_lshl_add_u64 v[6:7], v[2:3], 3, v[4:5]
	v_add_u32_e32 v2, s0, v2
	global_store_dwordx2 v[6:7], v[8:9], off
	v_lshl_add_u64 v[6:7], v[2:3], 3, v[4:5]
	s_waitcnt lgkmcnt(0)
	global_store_dwordx2 v[6:7], v[10:11], off
	ds_read2_b64 v[6:9], v14 offset0:108 offset1:135
	v_add_u32_e32 v2, s0, v2
	v_lshl_add_u64 v[10:11], v[2:3], 3, v[4:5]
	v_add_u32_e32 v2, s0, v2
	global_store_dwordx2 v[10:11], v[12:13], off
	v_lshl_add_u64 v[10:11], v[2:3], 3, v[4:5]
	s_waitcnt lgkmcnt(0)
	global_store_dwordx2 v[10:11], v[6:7], off
	ds_read2_b64 v[10:13], v14 offset0:162 offset1:189
	v_add_u32_e32 v2, s0, v2
	v_lshl_add_u64 v[6:7], v[2:3], 3, v[4:5]
	v_add_u32_e32 v2, s0, v2
	global_store_dwordx2 v[6:7], v[8:9], off
	v_lshl_add_u64 v[6:7], v[2:3], 3, v[4:5]
	s_waitcnt lgkmcnt(0)
	global_store_dwordx2 v[6:7], v[10:11], off
	ds_read_b64 v[6:7], v14 offset:1728
	v_add_u32_e32 v2, s0, v2
	v_lshl_add_u64 v[8:9], v[2:3], 3, v[4:5]
	v_add_u32_e32 v2, s0, v2
	v_lshl_add_u64 v[2:3], v[2:3], 3, v[4:5]
	global_store_dwordx2 v[8:9], v[12:13], off
	s_waitcnt lgkmcnt(0)
	global_store_dwordx2 v[2:3], v[6:7], off
	s_and_saveexec_b64 s[0:1], vcc
	s_cbranch_execz .LBB0_2
; %bb.1:
	ds_read_b64 v[0:1], v1 offset:1944
	s_mul_i32 s2, s20, 0xf3
	v_lshl_add_u64 v[2:3], s[2:3], 3, v[4:5]
	s_waitcnt lgkmcnt(0)
	global_store_dwordx2 v[2:3], v[0:1], off
.LBB0_2:
	s_endpgm
	.section	.rodata,"a",@progbits
	.p2align	6, 0x0
	.amdhsa_kernel fft_rtc_back_len243_factors_3_3_3_3_3_wgs_216_tpt_27_sp_op_CI_CI_sbrc_erc_z_xy_aligned_dirReg
		.amdhsa_group_segment_fixed_size 0
		.amdhsa_private_segment_fixed_size 0
		.amdhsa_kernarg_size 104
		.amdhsa_user_sgpr_count 2
		.amdhsa_user_sgpr_dispatch_ptr 0
		.amdhsa_user_sgpr_queue_ptr 0
		.amdhsa_user_sgpr_kernarg_segment_ptr 1
		.amdhsa_user_sgpr_dispatch_id 0
		.amdhsa_user_sgpr_kernarg_preload_length 0
		.amdhsa_user_sgpr_kernarg_preload_offset 0
		.amdhsa_user_sgpr_private_segment_size 0
		.amdhsa_uses_dynamic_stack 0
		.amdhsa_enable_private_segment 0
		.amdhsa_system_sgpr_workgroup_id_x 1
		.amdhsa_system_sgpr_workgroup_id_y 0
		.amdhsa_system_sgpr_workgroup_id_z 0
		.amdhsa_system_sgpr_workgroup_info 0
		.amdhsa_system_vgpr_workitem_id 0
		.amdhsa_next_free_vgpr 47
		.amdhsa_next_free_sgpr 28
		.amdhsa_accum_offset 48
		.amdhsa_reserve_vcc 1
		.amdhsa_float_round_mode_32 0
		.amdhsa_float_round_mode_16_64 0
		.amdhsa_float_denorm_mode_32 3
		.amdhsa_float_denorm_mode_16_64 3
		.amdhsa_dx10_clamp 1
		.amdhsa_ieee_mode 1
		.amdhsa_fp16_overflow 0
		.amdhsa_tg_split 0
		.amdhsa_exception_fp_ieee_invalid_op 0
		.amdhsa_exception_fp_denorm_src 0
		.amdhsa_exception_fp_ieee_div_zero 0
		.amdhsa_exception_fp_ieee_overflow 0
		.amdhsa_exception_fp_ieee_underflow 0
		.amdhsa_exception_fp_ieee_inexact 0
		.amdhsa_exception_int_div_zero 0
	.end_amdhsa_kernel
	.text
.Lfunc_end0:
	.size	fft_rtc_back_len243_factors_3_3_3_3_3_wgs_216_tpt_27_sp_op_CI_CI_sbrc_erc_z_xy_aligned_dirReg, .Lfunc_end0-fft_rtc_back_len243_factors_3_3_3_3_3_wgs_216_tpt_27_sp_op_CI_CI_sbrc_erc_z_xy_aligned_dirReg
                                        ; -- End function
	.section	.AMDGPU.csdata,"",@progbits
; Kernel info:
; codeLenInByte = 5016
; NumSgprs: 34
; NumVgprs: 47
; NumAgprs: 0
; TotalNumVgprs: 47
; ScratchSize: 0
; MemoryBound: 0
; FloatMode: 240
; IeeeMode: 1
; LDSByteSize: 0 bytes/workgroup (compile time only)
; SGPRBlocks: 4
; VGPRBlocks: 5
; NumSGPRsForWavesPerEU: 34
; NumVGPRsForWavesPerEU: 47
; AccumOffset: 48
; Occupancy: 8
; WaveLimiterHint : 1
; COMPUTE_PGM_RSRC2:SCRATCH_EN: 0
; COMPUTE_PGM_RSRC2:USER_SGPR: 2
; COMPUTE_PGM_RSRC2:TRAP_HANDLER: 0
; COMPUTE_PGM_RSRC2:TGID_X_EN: 1
; COMPUTE_PGM_RSRC2:TGID_Y_EN: 0
; COMPUTE_PGM_RSRC2:TGID_Z_EN: 0
; COMPUTE_PGM_RSRC2:TIDIG_COMP_CNT: 0
; COMPUTE_PGM_RSRC3_GFX90A:ACCUM_OFFSET: 11
; COMPUTE_PGM_RSRC3_GFX90A:TG_SPLIT: 0
	.text
	.p2alignl 6, 3212836864
	.fill 256, 4, 3212836864
	.type	__hip_cuid_b06b6442b74da694,@object ; @__hip_cuid_b06b6442b74da694
	.section	.bss,"aw",@nobits
	.globl	__hip_cuid_b06b6442b74da694
__hip_cuid_b06b6442b74da694:
	.byte	0                               ; 0x0
	.size	__hip_cuid_b06b6442b74da694, 1

	.ident	"AMD clang version 19.0.0git (https://github.com/RadeonOpenCompute/llvm-project roc-6.4.0 25133 c7fe45cf4b819c5991fe208aaa96edf142730f1d)"
	.section	".note.GNU-stack","",@progbits
	.addrsig
	.addrsig_sym __hip_cuid_b06b6442b74da694
	.amdgpu_metadata
---
amdhsa.kernels:
  - .agpr_count:     0
    .args:
      - .actual_access:  read_only
        .address_space:  global
        .offset:         0
        .size:           8
        .value_kind:     global_buffer
      - .offset:         8
        .size:           8
        .value_kind:     by_value
      - .actual_access:  read_only
        .address_space:  global
        .offset:         16
        .size:           8
        .value_kind:     global_buffer
      - .actual_access:  read_only
        .address_space:  global
        .offset:         24
        .size:           8
        .value_kind:     global_buffer
      - .actual_access:  read_only
        .address_space:  global
        .offset:         32
        .size:           8
        .value_kind:     global_buffer
      - .offset:         40
        .size:           8
        .value_kind:     by_value
      - .actual_access:  read_only
        .address_space:  global
        .offset:         48
        .size:           8
        .value_kind:     global_buffer
      - .actual_access:  read_only
        .address_space:  global
        .offset:         56
        .size:           8
        .value_kind:     global_buffer
      - .offset:         64
        .size:           4
        .value_kind:     by_value
      - .actual_access:  read_only
        .address_space:  global
        .offset:         72
        .size:           8
        .value_kind:     global_buffer
      - .actual_access:  read_only
        .address_space:  global
        .offset:         80
        .size:           8
        .value_kind:     global_buffer
      - .actual_access:  read_only
        .address_space:  global
        .offset:         88
        .size:           8
        .value_kind:     global_buffer
      - .actual_access:  write_only
        .address_space:  global
        .offset:         96
        .size:           8
        .value_kind:     global_buffer
    .group_segment_fixed_size: 0
    .kernarg_segment_align: 8
    .kernarg_segment_size: 104
    .language:       OpenCL C
    .language_version:
      - 2
      - 0
    .max_flat_workgroup_size: 216
    .name:           fft_rtc_back_len243_factors_3_3_3_3_3_wgs_216_tpt_27_sp_op_CI_CI_sbrc_erc_z_xy_aligned_dirReg
    .private_segment_fixed_size: 0
    .sgpr_count:     34
    .sgpr_spill_count: 0
    .symbol:         fft_rtc_back_len243_factors_3_3_3_3_3_wgs_216_tpt_27_sp_op_CI_CI_sbrc_erc_z_xy_aligned_dirReg.kd
    .uniform_work_group_size: 1
    .uses_dynamic_stack: false
    .vgpr_count:     47
    .vgpr_spill_count: 0
    .wavefront_size: 64
amdhsa.target:   amdgcn-amd-amdhsa--gfx950
amdhsa.version:
  - 1
  - 2
...

	.end_amdgpu_metadata
